;; amdgpu-corpus repo=ROCm/rocFFT kind=compiled arch=gfx1201 opt=O3
	.text
	.amdgcn_target "amdgcn-amd-amdhsa--gfx1201"
	.amdhsa_code_object_version 6
	.protected	fft_rtc_back_len1620_factors_10_3_3_6_3_wgs_162_tpt_162_halfLds_sp_ip_CI_unitstride_sbrr_R2C_dirReg ; -- Begin function fft_rtc_back_len1620_factors_10_3_3_6_3_wgs_162_tpt_162_halfLds_sp_ip_CI_unitstride_sbrr_R2C_dirReg
	.globl	fft_rtc_back_len1620_factors_10_3_3_6_3_wgs_162_tpt_162_halfLds_sp_ip_CI_unitstride_sbrr_R2C_dirReg
	.p2align	8
	.type	fft_rtc_back_len1620_factors_10_3_3_6_3_wgs_162_tpt_162_halfLds_sp_ip_CI_unitstride_sbrr_R2C_dirReg,@function
fft_rtc_back_len1620_factors_10_3_3_6_3_wgs_162_tpt_162_halfLds_sp_ip_CI_unitstride_sbrr_R2C_dirReg: ; @fft_rtc_back_len1620_factors_10_3_3_6_3_wgs_162_tpt_162_halfLds_sp_ip_CI_unitstride_sbrr_R2C_dirReg
; %bb.0:
	s_clause 0x2
	s_load_b128 s[4:7], s[0:1], 0x0
	s_load_b64 s[8:9], s[0:1], 0x50
	s_load_b64 s[10:11], s[0:1], 0x18
	v_mul_u32_u24_e32 v1, 0x195, v0
	v_mov_b32_e32 v3, 0
	s_delay_alu instid0(VALU_DEP_2) | instskip(NEXT) | instid1(VALU_DEP_1)
	v_lshrrev_b32_e32 v1, 16, v1
	v_add_nc_u32_e32 v5, ttmp9, v1
	v_mov_b32_e32 v1, 0
	v_mov_b32_e32 v2, 0
	;; [unrolled: 1-line block ×3, first 2 shown]
	s_wait_kmcnt 0x0
	v_cmp_lt_u64_e64 s2, s[6:7], 2
	s_delay_alu instid0(VALU_DEP_1)
	s_and_b32 vcc_lo, exec_lo, s2
	s_cbranch_vccnz .LBB0_8
; %bb.1:
	s_load_b64 s[2:3], s[0:1], 0x10
	v_mov_b32_e32 v1, 0
	v_mov_b32_e32 v2, 0
	s_add_nc_u64 s[12:13], s[10:11], 8
	s_mov_b64 s[14:15], 1
	s_wait_kmcnt 0x0
	s_add_nc_u64 s[16:17], s[2:3], 8
	s_mov_b32 s3, 0
.LBB0_2:                                ; =>This Inner Loop Header: Depth=1
	s_load_b64 s[18:19], s[16:17], 0x0
                                        ; implicit-def: $vgpr7_vgpr8
	s_mov_b32 s2, exec_lo
	s_wait_kmcnt 0x0
	v_or_b32_e32 v4, s19, v6
	s_delay_alu instid0(VALU_DEP_1)
	v_cmpx_ne_u64_e32 0, v[3:4]
	s_wait_alu 0xfffe
	s_xor_b32 s20, exec_lo, s2
	s_cbranch_execz .LBB0_4
; %bb.3:                                ;   in Loop: Header=BB0_2 Depth=1
	s_cvt_f32_u32 s2, s18
	s_cvt_f32_u32 s21, s19
	s_sub_nc_u64 s[24:25], 0, s[18:19]
	s_wait_alu 0xfffe
	s_delay_alu instid0(SALU_CYCLE_1) | instskip(SKIP_1) | instid1(SALU_CYCLE_2)
	s_fmamk_f32 s2, s21, 0x4f800000, s2
	s_wait_alu 0xfffe
	v_s_rcp_f32 s2, s2
	s_delay_alu instid0(TRANS32_DEP_1) | instskip(SKIP_1) | instid1(SALU_CYCLE_2)
	s_mul_f32 s2, s2, 0x5f7ffffc
	s_wait_alu 0xfffe
	s_mul_f32 s21, s2, 0x2f800000
	s_wait_alu 0xfffe
	s_delay_alu instid0(SALU_CYCLE_2) | instskip(SKIP_1) | instid1(SALU_CYCLE_2)
	s_trunc_f32 s21, s21
	s_wait_alu 0xfffe
	s_fmamk_f32 s2, s21, 0xcf800000, s2
	s_cvt_u32_f32 s23, s21
	s_wait_alu 0xfffe
	s_delay_alu instid0(SALU_CYCLE_1) | instskip(SKIP_1) | instid1(SALU_CYCLE_2)
	s_cvt_u32_f32 s22, s2
	s_wait_alu 0xfffe
	s_mul_u64 s[26:27], s[24:25], s[22:23]
	s_wait_alu 0xfffe
	s_mul_hi_u32 s29, s22, s27
	s_mul_i32 s28, s22, s27
	s_mul_hi_u32 s2, s22, s26
	s_mul_i32 s30, s23, s26
	s_wait_alu 0xfffe
	s_add_nc_u64 s[28:29], s[2:3], s[28:29]
	s_mul_hi_u32 s21, s23, s26
	s_mul_hi_u32 s31, s23, s27
	s_add_co_u32 s2, s28, s30
	s_wait_alu 0xfffe
	s_add_co_ci_u32 s2, s29, s21
	s_mul_i32 s26, s23, s27
	s_add_co_ci_u32 s27, s31, 0
	s_wait_alu 0xfffe
	s_add_nc_u64 s[26:27], s[2:3], s[26:27]
	s_wait_alu 0xfffe
	v_add_co_u32 v4, s2, s22, s26
	s_delay_alu instid0(VALU_DEP_1) | instskip(SKIP_1) | instid1(VALU_DEP_1)
	s_cmp_lg_u32 s2, 0
	s_add_co_ci_u32 s23, s23, s27
	v_readfirstlane_b32 s22, v4
	s_wait_alu 0xfffe
	s_delay_alu instid0(VALU_DEP_1)
	s_mul_u64 s[24:25], s[24:25], s[22:23]
	s_wait_alu 0xfffe
	s_mul_hi_u32 s27, s22, s25
	s_mul_i32 s26, s22, s25
	s_mul_hi_u32 s2, s22, s24
	s_mul_i32 s28, s23, s24
	s_wait_alu 0xfffe
	s_add_nc_u64 s[26:27], s[2:3], s[26:27]
	s_mul_hi_u32 s21, s23, s24
	s_mul_hi_u32 s22, s23, s25
	s_wait_alu 0xfffe
	s_add_co_u32 s2, s26, s28
	s_add_co_ci_u32 s2, s27, s21
	s_mul_i32 s24, s23, s25
	s_add_co_ci_u32 s25, s22, 0
	s_wait_alu 0xfffe
	s_add_nc_u64 s[24:25], s[2:3], s[24:25]
	s_wait_alu 0xfffe
	v_add_co_u32 v4, s2, v4, s24
	s_delay_alu instid0(VALU_DEP_1) | instskip(SKIP_1) | instid1(VALU_DEP_1)
	s_cmp_lg_u32 s2, 0
	s_add_co_ci_u32 s2, s23, s25
	v_mul_hi_u32 v13, v5, v4
	s_wait_alu 0xfffe
	v_mad_co_u64_u32 v[7:8], null, v5, s2, 0
	v_mad_co_u64_u32 v[9:10], null, v6, v4, 0
	;; [unrolled: 1-line block ×3, first 2 shown]
	s_delay_alu instid0(VALU_DEP_3) | instskip(SKIP_1) | instid1(VALU_DEP_4)
	v_add_co_u32 v4, vcc_lo, v13, v7
	s_wait_alu 0xfffd
	v_add_co_ci_u32_e32 v7, vcc_lo, 0, v8, vcc_lo
	s_delay_alu instid0(VALU_DEP_2) | instskip(SKIP_1) | instid1(VALU_DEP_2)
	v_add_co_u32 v4, vcc_lo, v4, v9
	s_wait_alu 0xfffd
	v_add_co_ci_u32_e32 v4, vcc_lo, v7, v10, vcc_lo
	s_wait_alu 0xfffd
	v_add_co_ci_u32_e32 v7, vcc_lo, 0, v12, vcc_lo
	s_delay_alu instid0(VALU_DEP_2) | instskip(SKIP_1) | instid1(VALU_DEP_2)
	v_add_co_u32 v4, vcc_lo, v4, v11
	s_wait_alu 0xfffd
	v_add_co_ci_u32_e32 v9, vcc_lo, 0, v7, vcc_lo
	s_delay_alu instid0(VALU_DEP_2) | instskip(SKIP_1) | instid1(VALU_DEP_3)
	v_mul_lo_u32 v10, s19, v4
	v_mad_co_u64_u32 v[7:8], null, s18, v4, 0
	v_mul_lo_u32 v11, s18, v9
	s_delay_alu instid0(VALU_DEP_2) | instskip(NEXT) | instid1(VALU_DEP_2)
	v_sub_co_u32 v7, vcc_lo, v5, v7
	v_add3_u32 v8, v8, v11, v10
	s_delay_alu instid0(VALU_DEP_1) | instskip(SKIP_1) | instid1(VALU_DEP_1)
	v_sub_nc_u32_e32 v10, v6, v8
	s_wait_alu 0xfffd
	v_subrev_co_ci_u32_e64 v10, s2, s19, v10, vcc_lo
	v_add_co_u32 v11, s2, v4, 2
	s_wait_alu 0xf1ff
	v_add_co_ci_u32_e64 v12, s2, 0, v9, s2
	v_sub_co_u32 v13, s2, v7, s18
	v_sub_co_ci_u32_e32 v8, vcc_lo, v6, v8, vcc_lo
	s_wait_alu 0xf1ff
	v_subrev_co_ci_u32_e64 v10, s2, 0, v10, s2
	s_delay_alu instid0(VALU_DEP_3) | instskip(NEXT) | instid1(VALU_DEP_3)
	v_cmp_le_u32_e32 vcc_lo, s18, v13
	v_cmp_eq_u32_e64 s2, s19, v8
	s_wait_alu 0xfffd
	v_cndmask_b32_e64 v13, 0, -1, vcc_lo
	v_cmp_le_u32_e32 vcc_lo, s19, v10
	s_wait_alu 0xfffd
	v_cndmask_b32_e64 v14, 0, -1, vcc_lo
	v_cmp_le_u32_e32 vcc_lo, s18, v7
	;; [unrolled: 3-line block ×3, first 2 shown]
	s_wait_alu 0xfffd
	v_cndmask_b32_e64 v15, 0, -1, vcc_lo
	v_cmp_eq_u32_e32 vcc_lo, s19, v10
	s_wait_alu 0xf1ff
	s_delay_alu instid0(VALU_DEP_2)
	v_cndmask_b32_e64 v7, v15, v7, s2
	s_wait_alu 0xfffd
	v_cndmask_b32_e32 v10, v14, v13, vcc_lo
	v_add_co_u32 v13, vcc_lo, v4, 1
	s_wait_alu 0xfffd
	v_add_co_ci_u32_e32 v14, vcc_lo, 0, v9, vcc_lo
	s_delay_alu instid0(VALU_DEP_3) | instskip(SKIP_2) | instid1(VALU_DEP_3)
	v_cmp_ne_u32_e32 vcc_lo, 0, v10
	s_wait_alu 0xfffd
	v_cndmask_b32_e32 v10, v13, v11, vcc_lo
	v_cndmask_b32_e32 v8, v14, v12, vcc_lo
	v_cmp_ne_u32_e32 vcc_lo, 0, v7
	s_wait_alu 0xfffd
	s_delay_alu instid0(VALU_DEP_2)
	v_dual_cndmask_b32 v7, v4, v10 :: v_dual_cndmask_b32 v8, v9, v8
.LBB0_4:                                ;   in Loop: Header=BB0_2 Depth=1
	s_wait_alu 0xfffe
	s_and_not1_saveexec_b32 s2, s20
	s_cbranch_execz .LBB0_6
; %bb.5:                                ;   in Loop: Header=BB0_2 Depth=1
	v_cvt_f32_u32_e32 v4, s18
	s_sub_co_i32 s20, 0, s18
	s_delay_alu instid0(VALU_DEP_1) | instskip(NEXT) | instid1(TRANS32_DEP_1)
	v_rcp_iflag_f32_e32 v4, v4
	v_mul_f32_e32 v4, 0x4f7ffffe, v4
	s_delay_alu instid0(VALU_DEP_1) | instskip(SKIP_1) | instid1(VALU_DEP_1)
	v_cvt_u32_f32_e32 v4, v4
	s_wait_alu 0xfffe
	v_mul_lo_u32 v7, s20, v4
	s_delay_alu instid0(VALU_DEP_1) | instskip(NEXT) | instid1(VALU_DEP_1)
	v_mul_hi_u32 v7, v4, v7
	v_add_nc_u32_e32 v4, v4, v7
	s_delay_alu instid0(VALU_DEP_1) | instskip(NEXT) | instid1(VALU_DEP_1)
	v_mul_hi_u32 v4, v5, v4
	v_mul_lo_u32 v7, v4, s18
	v_add_nc_u32_e32 v8, 1, v4
	s_delay_alu instid0(VALU_DEP_2) | instskip(NEXT) | instid1(VALU_DEP_1)
	v_sub_nc_u32_e32 v7, v5, v7
	v_subrev_nc_u32_e32 v9, s18, v7
	v_cmp_le_u32_e32 vcc_lo, s18, v7
	s_wait_alu 0xfffd
	s_delay_alu instid0(VALU_DEP_2) | instskip(NEXT) | instid1(VALU_DEP_1)
	v_dual_cndmask_b32 v7, v7, v9 :: v_dual_cndmask_b32 v4, v4, v8
	v_cmp_le_u32_e32 vcc_lo, s18, v7
	s_delay_alu instid0(VALU_DEP_2) | instskip(SKIP_1) | instid1(VALU_DEP_1)
	v_add_nc_u32_e32 v8, 1, v4
	s_wait_alu 0xfffd
	v_dual_cndmask_b32 v7, v4, v8 :: v_dual_mov_b32 v8, v3
.LBB0_6:                                ;   in Loop: Header=BB0_2 Depth=1
	s_wait_alu 0xfffe
	s_or_b32 exec_lo, exec_lo, s2
	s_load_b64 s[20:21], s[12:13], 0x0
	s_delay_alu instid0(VALU_DEP_1)
	v_mul_lo_u32 v4, v8, s18
	v_mul_lo_u32 v11, v7, s19
	v_mad_co_u64_u32 v[9:10], null, v7, s18, 0
	s_add_nc_u64 s[14:15], s[14:15], 1
	s_add_nc_u64 s[12:13], s[12:13], 8
	s_wait_alu 0xfffe
	v_cmp_ge_u64_e64 s2, s[14:15], s[6:7]
	s_add_nc_u64 s[16:17], s[16:17], 8
	s_delay_alu instid0(VALU_DEP_2) | instskip(NEXT) | instid1(VALU_DEP_3)
	v_add3_u32 v4, v10, v11, v4
	v_sub_co_u32 v5, vcc_lo, v5, v9
	s_wait_alu 0xfffd
	s_delay_alu instid0(VALU_DEP_2) | instskip(SKIP_3) | instid1(VALU_DEP_2)
	v_sub_co_ci_u32_e32 v4, vcc_lo, v6, v4, vcc_lo
	s_and_b32 vcc_lo, exec_lo, s2
	s_wait_kmcnt 0x0
	v_mul_lo_u32 v6, s21, v5
	v_mul_lo_u32 v4, s20, v4
	v_mad_co_u64_u32 v[1:2], null, s20, v5, v[1:2]
	s_delay_alu instid0(VALU_DEP_1)
	v_add3_u32 v2, v6, v2, v4
	s_wait_alu 0xfffe
	s_cbranch_vccnz .LBB0_9
; %bb.7:                                ;   in Loop: Header=BB0_2 Depth=1
	v_dual_mov_b32 v5, v7 :: v_dual_mov_b32 v6, v8
	s_branch .LBB0_2
.LBB0_8:
	v_dual_mov_b32 v8, v6 :: v_dual_mov_b32 v7, v5
.LBB0_9:
	s_lshl_b64 s[2:3], s[6:7], 3
	v_mul_hi_u32 v3, 0x1948b10, v0
	s_wait_alu 0xfffe
	s_add_nc_u64 s[2:3], s[10:11], s[2:3]
	s_load_b64 s[0:1], s[0:1], 0x20
	s_load_b64 s[2:3], s[2:3], 0x0
	s_delay_alu instid0(VALU_DEP_1) | instskip(NEXT) | instid1(VALU_DEP_1)
	v_mul_u32_u24_e32 v3, 0xa2, v3
	v_sub_nc_u32_e32 v12, v0, v3
	s_delay_alu instid0(VALU_DEP_1)
	v_add_nc_u32_e32 v17, 0xa2, v12
	v_add_nc_u32_e32 v19, 0x144, v12
	;; [unrolled: 1-line block ×3, first 2 shown]
	s_wait_kmcnt 0x0
	v_cmp_gt_u64_e32 vcc_lo, s[0:1], v[7:8]
	v_mul_lo_u32 v3, s2, v8
	v_mul_lo_u32 v4, s3, v7
	v_mad_co_u64_u32 v[0:1], null, s2, v7, v[1:2]
	v_cmp_le_u64_e64 s0, s[0:1], v[7:8]
	s_delay_alu instid0(VALU_DEP_2) | instskip(NEXT) | instid1(VALU_DEP_2)
	v_add3_u32 v1, v4, v1, v3
	s_and_saveexec_b32 s1, s0
	s_wait_alu 0xfffe
	s_xor_b32 s0, exec_lo, s1
; %bb.10:
	v_add_nc_u32_e32 v17, 0xa2, v12
	v_add_nc_u32_e32 v19, 0x144, v12
	;; [unrolled: 1-line block ×3, first 2 shown]
; %bb.11:
	s_wait_alu 0xfffe
	s_or_saveexec_b32 s1, s0
	v_lshlrev_b64_e32 v[14:15], 3, v[0:1]
	v_lshl_add_u32 v34, v12, 3, 0
	s_wait_alu 0xfffe
	s_xor_b32 exec_lo, exec_lo, s1
	s_cbranch_execz .LBB0_13
; %bb.12:
	s_delay_alu instid0(VALU_DEP_1) | instskip(SKIP_3) | instid1(VALU_DEP_3)
	v_dual_mov_b32 v13, 0 :: v_dual_add_nc_u32 v18, 0x1400, v34
	v_add_co_u32 v2, s0, s8, v14
	s_wait_alu 0xf1ff
	v_add_co_ci_u32_e64 v3, s0, s9, v15, s0
	v_lshlrev_b64_e32 v[0:1], 3, v[12:13]
	v_add_nc_u32_e32 v13, 0x800, v34
	v_add_nc_u32_e32 v28, 0x1c00, v34
	;; [unrolled: 1-line block ×3, first 2 shown]
	s_delay_alu instid0(VALU_DEP_4)
	v_add_co_u32 v0, s0, v2, v0
	s_wait_alu 0xf1ff
	v_add_co_ci_u32_e64 v1, s0, v3, v1, s0
	s_clause 0x9
	global_load_b64 v[2:3], v[0:1], off
	global_load_b64 v[4:5], v[0:1], off offset:1296
	global_load_b64 v[6:7], v[0:1], off offset:2592
	;; [unrolled: 1-line block ×9, first 2 shown]
	s_wait_loadcnt 0x8
	ds_store_2addr_b64 v34, v[2:3], v[4:5] offset1:162
	s_wait_loadcnt 0x6
	ds_store_2addr_b64 v13, v[6:7], v[8:9] offset0:68 offset1:230
	s_wait_loadcnt 0x4
	ds_store_2addr_b64 v18, v[10:11], v[20:21] offset0:8 offset1:170
	s_wait_loadcnt 0x2
	ds_store_2addr_b64 v28, v[22:23], v[24:25] offset0:76 offset1:238
	s_wait_loadcnt 0x0
	ds_store_2addr_b64 v29, v[26:27], v[0:1] offset0:16 offset1:178
.LBB0_13:
	s_or_b32 exec_lo, exec_lo, s1
	v_add_nc_u32_e32 v4, 0x800, v34
	v_add_nc_u32_e32 v8, 0x1400, v34
	;; [unrolled: 1-line block ×4, first 2 shown]
	global_wb scope:SCOPE_SE
	s_wait_dscnt 0x0
	s_barrier_signal -1
	s_barrier_wait -1
	global_inv scope:SCOPE_SE
	ds_load_2addr_b64 v[0:3], v34 offset1:162
	ds_load_2addr_b64 v[4:7], v4 offset0:68 offset1:230
	ds_load_2addr_b64 v[8:11], v8 offset0:8 offset1:170
	;; [unrolled: 1-line block ×4, first 2 shown]
	global_wb scope:SCOPE_SE
	s_wait_dscnt 0x0
	s_barrier_signal -1
	s_barrier_wait -1
	global_inv scope:SCOPE_SE
	v_cmp_gt_u32_e64 s0, 54, v12
	v_add_f32_e32 v13, v0, v4
	v_dual_sub_f32 v30, v4, v8 :: v_dual_add_f32 v37, v9, v21
	v_add_f32_e32 v18, v8, v20
	v_dual_sub_f32 v28, v5, v25 :: v_dual_sub_f32 v33, v8, v4
	v_sub_f32_e32 v29, v9, v21
	v_sub_f32_e32 v31, v24, v20
	v_add_f32_e32 v32, v4, v24
	v_dual_sub_f32 v35, v20, v24 :: v_dual_add_f32 v36, v1, v5
	s_delay_alu instid0(VALU_DEP_3) | instskip(SKIP_1) | instid1(VALU_DEP_4)
	v_dual_add_f32 v13, v13, v8 :: v_dual_add_f32 v30, v30, v31
	v_fma_f32 v18, -0.5, v18, v0
	v_fma_f32 v31, -0.5, v32, v0
	s_delay_alu instid0(VALU_DEP_4) | instskip(NEXT) | instid1(VALU_DEP_4)
	v_add_f32_e32 v0, v33, v35
	v_dual_add_f32 v32, v36, v9 :: v_dual_add_f32 v13, v13, v20
	s_delay_alu instid0(VALU_DEP_4)
	v_fmamk_f32 v35, v28, 0xbf737871, v18
	v_fmac_f32_e32 v18, 0x3f737871, v28
	v_sub_f32_e32 v4, v4, v24
	v_fma_f32 v33, -0.5, v37, v1
	v_fmamk_f32 v36, v29, 0x3f737871, v31
	v_fmac_f32_e32 v31, 0xbf737871, v29
	v_dual_add_f32 v32, v32, v21 :: v_dual_add_f32 v13, v13, v24
	v_fmac_f32_e32 v35, 0xbf167918, v29
	s_delay_alu instid0(VALU_DEP_3) | instskip(SKIP_1) | instid1(VALU_DEP_3)
	v_dual_fmac_f32 v18, 0x3f167918, v29 :: v_dual_fmac_f32 v31, 0x3f167918, v28
	v_add_f32_e32 v24, v5, v25
	v_dual_sub_f32 v8, v8, v20 :: v_dual_fmac_f32 v35, 0x3e9e377a, v30
	s_delay_alu instid0(VALU_DEP_3) | instskip(SKIP_1) | instid1(VALU_DEP_4)
	v_dual_fmac_f32 v18, 0x3e9e377a, v30 :: v_dual_fmac_f32 v31, 0x3e9e377a, v0
	v_sub_f32_e32 v29, v25, v21
	v_fma_f32 v30, -0.5, v24, v1
	v_sub_f32_e32 v1, v9, v5
	v_sub_f32_e32 v20, v5, v9
	;; [unrolled: 1-line block ×3, first 2 shown]
	v_dual_add_f32 v9, v2, v6 :: v_dual_fmac_f32 v36, 0xbf167918, v28
	v_fmamk_f32 v28, v4, 0x3f737871, v33
	v_fmac_f32_e32 v33, 0xbf737871, v4
	s_delay_alu instid0(VALU_DEP_4)
	v_add_f32_e32 v1, v1, v5
	v_add_f32_e32 v32, v32, v25
	v_fmac_f32_e32 v36, 0x3e9e377a, v0
	v_dual_fmac_f32 v28, 0x3f167918, v8 :: v_dual_add_f32 v5, v9, v10
	v_add_f32_e32 v0, v20, v29
	v_fmamk_f32 v29, v8, 0xbf737871, v30
	v_fmac_f32_e32 v33, 0xbf167918, v8
	v_sub_f32_e32 v25, v22, v26
	s_delay_alu instid0(VALU_DEP_3) | instskip(SKIP_1) | instid1(VALU_DEP_4)
	v_fmac_f32_e32 v29, 0x3f167918, v4
	v_fmac_f32_e32 v28, 0x3e9e377a, v0
	v_dual_fmac_f32 v33, 0x3e9e377a, v0 :: v_dual_add_f32 v0, v5, v22
	s_delay_alu instid0(VALU_DEP_1) | instskip(SKIP_3) | instid1(VALU_DEP_2)
	v_dual_fmac_f32 v29, 0x3e9e377a, v1 :: v_dual_add_f32 v20, v0, v26
	v_sub_f32_e32 v0, v11, v23
	v_fmac_f32_e32 v30, 0x3f737871, v8
	v_add_f32_e32 v8, v10, v22
	v_fmac_f32_e32 v30, 0xbf167918, v4
	s_delay_alu instid0(VALU_DEP_2) | instskip(SKIP_1) | instid1(VALU_DEP_1)
	v_fma_f32 v5, -0.5, v8, v2
	v_sub_f32_e32 v8, v7, v27
	v_dual_add_f32 v4, v6, v26 :: v_dual_fmamk_f32 v9, v8, 0xbf737871, v5
	v_fmac_f32_e32 v5, 0x3f737871, v8
	s_delay_alu instid0(VALU_DEP_2) | instskip(SKIP_1) | instid1(VALU_DEP_4)
	v_fmac_f32_e32 v9, 0xbf167918, v0
	v_fmac_f32_e32 v30, 0x3e9e377a, v1
	v_fma_f32 v1, -0.5, v4, v2
	s_delay_alu instid0(VALU_DEP_4) | instskip(NEXT) | instid1(VALU_DEP_2)
	v_fmac_f32_e32 v5, 0x3f167918, v0
	v_fmamk_f32 v21, v0, 0x3f737871, v1
	s_delay_alu instid0(VALU_DEP_1) | instskip(SKIP_1) | instid1(VALU_DEP_1)
	v_dual_fmac_f32 v21, 0xbf167918, v8 :: v_dual_sub_f32 v2, v6, v10
	v_dual_fmac_f32 v1, 0xbf737871, v0 :: v_dual_sub_f32 v4, v26, v22
	v_dual_sub_f32 v24, v10, v6 :: v_dual_fmac_f32 v1, 0x3f167918, v8
	s_delay_alu instid0(VALU_DEP_2) | instskip(NEXT) | instid1(VALU_DEP_2)
	v_add_f32_e32 v2, v2, v4
	v_dual_add_f32 v4, v24, v25 :: v_dual_sub_f32 v25, v23, v27
	s_delay_alu instid0(VALU_DEP_2) | instskip(SKIP_1) | instid1(VALU_DEP_3)
	v_fmac_f32_e32 v5, 0x3e9e377a, v2
	v_dual_fmac_f32 v9, 0x3e9e377a, v2 :: v_dual_add_f32 v2, v7, v27
	v_dual_fmac_f32 v1, 0x3e9e377a, v4 :: v_dual_add_f32 v0, v11, v23
	v_dual_fmac_f32 v21, 0x3e9e377a, v4 :: v_dual_sub_f32 v4, v27, v23
	s_delay_alu instid0(VALU_DEP_2) | instskip(SKIP_3) | instid1(VALU_DEP_1)
	v_fma_f32 v8, -0.5, v0, v3
	v_sub_f32_e32 v0, v6, v26
	v_sub_f32_e32 v10, v10, v22
	v_dual_add_f32 v6, v3, v7 :: v_dual_fmac_f32 v3, -0.5, v2
	v_fmamk_f32 v24, v10, 0xbf737871, v3
	v_fmac_f32_e32 v3, 0x3f737871, v10
	s_delay_alu instid0(VALU_DEP_1) | instskip(NEXT) | instid1(VALU_DEP_1)
	v_dual_fmac_f32 v3, 0xbf167918, v0 :: v_dual_sub_f32 v2, v7, v11
	v_dual_sub_f32 v7, v11, v7 :: v_dual_add_f32 v2, v2, v4
	s_delay_alu instid0(VALU_DEP_1) | instskip(NEXT) | instid1(VALU_DEP_1)
	v_add_f32_e32 v4, v7, v25
	v_fmac_f32_e32 v3, 0x3e9e377a, v4
	s_delay_alu instid0(VALU_DEP_1) | instskip(SKIP_1) | instid1(VALU_DEP_2)
	v_mul_f32_e32 v25, 0xbf737871, v3
	v_fmac_f32_e32 v24, 0x3f167918, v0
	v_dual_mul_f32 v40, 0xbe9e377a, v3 :: v_dual_fmac_f32 v25, 0xbe9e377a, v1
	s_delay_alu instid0(VALU_DEP_2) | instskip(NEXT) | instid1(VALU_DEP_2)
	v_fmac_f32_e32 v24, 0x3e9e377a, v4
	v_fmac_f32_e32 v40, 0x3f737871, v1
	s_delay_alu instid0(VALU_DEP_2) | instskip(SKIP_4) | instid1(VALU_DEP_2)
	v_dual_sub_f32 v26, v31, v25 :: v_dual_mul_f32 v39, 0x3e9e377a, v24
	v_fmamk_f32 v22, v0, 0x3f737871, v8
	v_fmac_f32_e32 v8, 0xbf737871, v0
	v_add_f32_e32 v0, v6, v11
	v_add_f32_e32 v7, v30, v40
	v_dual_fmac_f32 v39, 0x3f737871, v21 :: v_dual_add_f32 v0, v0, v23
	s_delay_alu instid0(VALU_DEP_1) | instskip(NEXT) | instid1(VALU_DEP_1)
	v_dual_fmac_f32 v22, 0x3f167918, v10 :: v_dual_add_f32 v27, v0, v27
	v_fmac_f32_e32 v22, 0x3e9e377a, v2
	s_delay_alu instid0(VALU_DEP_2) | instskip(SKIP_1) | instid1(VALU_DEP_3)
	v_dual_mul_f32 v38, 0x3f167918, v9 :: v_dual_add_f32 v1, v32, v27
	v_fmac_f32_e32 v8, 0xbf167918, v10
	v_dual_mul_f32 v11, 0xbf167918, v22 :: v_dual_sub_f32 v10, v13, v20
	s_delay_alu instid0(VALU_DEP_1) | instskip(NEXT) | instid1(VALU_DEP_3)
	v_fmac_f32_e32 v11, 0x3f4f1bbd, v9
	v_fmac_f32_e32 v8, 0x3e9e377a, v2
	v_dual_add_f32 v6, v31, v25 :: v_dual_sub_f32 v25, v29, v39
                                        ; implicit-def: $vgpr31
	s_delay_alu instid0(VALU_DEP_2) | instskip(NEXT) | instid1(VALU_DEP_1)
	v_dual_add_f32 v2, v35, v11 :: v_dual_mul_f32 v41, 0xbf4f1bbd, v8
	v_fmac_f32_e32 v41, 0x3f167918, v5
	s_delay_alu instid0(VALU_DEP_1)
	v_add_f32_e32 v9, v33, v41
	v_mul_f32_e32 v37, 0xbf167918, v8
	v_add_f32_e32 v0, v13, v20
	v_sub_f32_e32 v20, v35, v11
	v_sub_f32_e32 v11, v32, v27
	v_mad_u32_u24 v13, 0x48, v12, v34
	v_fmac_f32_e32 v37, 0xbf4f1bbd, v5
	v_dual_add_f32 v5, v29, v39 :: v_dual_fmac_f32 v38, 0x3f4f1bbd, v22
	v_sub_f32_e32 v27, v30, v40
	v_lshl_add_u32 v35, v16, 3, 0
	s_delay_alu instid0(VALU_DEP_4) | instskip(NEXT) | instid1(VALU_DEP_4)
	v_add_f32_e32 v8, v18, v37
	v_dual_sub_f32 v22, v18, v37 :: v_dual_add_f32 v3, v28, v38
	v_mul_f32_e32 v23, 0xbf737871, v24
	v_lshl_add_u32 v37, v17, 3, 0
	s_delay_alu instid0(VALU_DEP_2) | instskip(SKIP_1) | instid1(VALU_DEP_2)
	v_fmac_f32_e32 v23, 0x3e9e377a, v21
	v_sub_f32_e32 v21, v28, v38
	v_add_f32_e32 v4, v36, v23
	v_dual_sub_f32 v24, v36, v23 :: v_dual_sub_f32 v23, v33, v41
	ds_store_2addr_b64 v13, v[0:1], v[2:3] offset1:1
	ds_store_2addr_b64 v13, v[4:5], v[6:7] offset0:2 offset1:3
	ds_store_2addr_b64 v13, v[8:9], v[10:11] offset0:4 offset1:5
	;; [unrolled: 1-line block ×4, first 2 shown]
	v_add_nc_u32_e32 v0, 0x1000, v34
	v_add_nc_u32_e32 v4, 0x1a00, v34
	;; [unrolled: 1-line block ×3, first 2 shown]
	v_lshl_add_u32 v36, v19, 3, 0
	global_wb scope:SCOPE_SE
	s_wait_dscnt 0x0
	s_barrier_signal -1
	s_barrier_wait -1
	global_inv scope:SCOPE_SE
	ds_load_2addr_b64 v[0:3], v0 offset0:28 offset1:190
	ds_load_2addr_b64 v[4:7], v4 offset0:32 offset1:248
	ds_load_b64 v[26:27], v37
	ds_load_2addr_b64 v[8:11], v8 offset0:90 offset1:252
	ds_load_b64 v[28:29], v34
	ds_load_b64 v[24:25], v36
                                        ; implicit-def: $vgpr21
	s_and_saveexec_b32 s1, s0
	s_cbranch_execz .LBB0_15
; %bb.14:
	ds_load_b64 v[22:23], v35
	ds_load_b64 v[30:31], v34 offset:8208
	ds_load_b64 v[20:21], v34 offset:12528
.LBB0_15:
	s_wait_alu 0xfffe
	s_or_b32 exec_lo, exec_lo, s1
	v_and_b32_e32 v18, 0xff, v12
	v_and_b32_e32 v13, 0xffff, v17
	;; [unrolled: 1-line block ×3, first 2 shown]
	s_delay_alu instid0(VALU_DEP_3) | instskip(NEXT) | instid1(VALU_DEP_3)
	v_mul_lo_u16 v33, 0xcd, v18
	v_mul_u32_u24_e32 v38, 0xcccd, v13
	s_delay_alu instid0(VALU_DEP_3) | instskip(NEXT) | instid1(VALU_DEP_3)
	v_mul_u32_u24_e32 v39, 0xcccd, v32
	v_lshrrev_b16 v56, 11, v33
	v_and_b32_e32 v33, 0xffff, v16
	s_delay_alu instid0(VALU_DEP_4) | instskip(NEXT) | instid1(VALU_DEP_4)
	v_lshrrev_b32_e32 v57, 19, v38
	v_lshrrev_b32_e32 v58, 19, v39
	s_delay_alu instid0(VALU_DEP_4) | instskip(NEXT) | instid1(VALU_DEP_4)
	v_mul_lo_u16 v38, v56, 10
	v_mul_u32_u24_e32 v40, 0xcccd, v33
	s_delay_alu instid0(VALU_DEP_4) | instskip(SKIP_1) | instid1(VALU_DEP_4)
	v_mul_lo_u16 v39, v57, 10
	v_mul_u32_u24_e32 v57, 0xf0, v57
	v_sub_nc_u16 v41, v12, v38
	s_delay_alu instid0(VALU_DEP_4)
	v_lshrrev_b32_e32 v38, 19, v40
	v_mul_lo_u16 v40, v58, 10
	v_sub_nc_u16 v39, v17, v39
	v_mul_u32_u24_e32 v58, 0xf0, v58
	v_and_b32_e32 v59, 0xff, v41
	v_mul_lo_u16 v41, v38, 10
	v_sub_nc_u16 v40, v19, v40
	v_and_b32_e32 v60, 0xffff, v39
	s_delay_alu instid0(VALU_DEP_4) | instskip(NEXT) | instid1(VALU_DEP_4)
	v_lshlrev_b32_e32 v39, 4, v59
	v_sub_nc_u16 v44, v16, v41
	s_delay_alu instid0(VALU_DEP_4) | instskip(NEXT) | instid1(VALU_DEP_4)
	v_and_b32_e32 v61, 0xffff, v40
	v_lshlrev_b32_e32 v45, 4, v60
	global_load_b128 v[40:43], v39, s[4:5]
	v_and_b32_e32 v39, 0xffff, v44
	global_load_b128 v[44:47], v45, s[4:5]
	v_lshlrev_b32_e32 v48, 4, v61
	v_lshlrev_b32_e32 v52, 4, v39
	s_clause 0x1
	global_load_b128 v[48:51], v48, s[4:5]
	global_load_b128 v[52:55], v52, s[4:5]
	v_and_b32_e32 v56, 0xffff, v56
	v_lshlrev_b32_e32 v60, 3, v60
	global_wb scope:SCOPE_SE
	s_wait_loadcnt_dscnt 0x0
	s_barrier_signal -1
	s_barrier_wait -1
	global_inv scope:SCOPE_SE
	v_mul_f32_e32 v62, v47, v9
	s_delay_alu instid0(VALU_DEP_1)
	v_dual_fmac_f32 v62, v46, v8 :: v_dual_mul_f32 v63, v49, v5
	v_mul_u32_u24_e32 v56, 0xf0, v56
	v_mul_f32_e32 v64, v51, v11
	v_mul_f32_e32 v51, v51, v10
	v_lshlrev_b32_e32 v59, 3, v59
	v_add3_u32 v57, 0, v57, v60
	v_mul_f32_e32 v60, v43, v7
	v_dual_mul_f32 v43, v43, v6 :: v_dual_mul_f32 v66, v21, v55
	s_delay_alu instid0(VALU_DEP_4) | instskip(SKIP_4) | instid1(VALU_DEP_4)
	v_add3_u32 v56, 0, v56, v59
	v_mul_f32_e32 v59, v41, v1
	v_dual_mul_f32 v41, v41, v0 :: v_dual_fmac_f32 v64, v50, v10
	v_fmac_f32_e32 v60, v42, v6
	v_fmac_f32_e32 v66, v20, v54
	;; [unrolled: 1-line block ×3, first 2 shown]
	v_lshlrev_b32_e32 v61, 3, v61
	v_fma_f32 v0, v40, v1, -v41
	v_fma_f32 v1, v42, v7, -v43
	s_delay_alu instid0(VALU_DEP_4) | instskip(NEXT) | instid1(VALU_DEP_4)
	v_dual_mul_f32 v47, v47, v8 :: v_dual_add_f32 v8, v28, v59
	v_add3_u32 v58, 0, v58, v61
	s_delay_alu instid0(VALU_DEP_3) | instskip(SKIP_2) | instid1(VALU_DEP_3)
	v_dual_mul_f32 v61, v45, v3 :: v_dual_sub_f32 v10, v0, v1
	v_mul_f32_e32 v45, v45, v2
	v_mul_f32_e32 v49, v49, v4
	v_fmac_f32_e32 v61, v44, v2
	s_delay_alu instid0(VALU_DEP_3) | instskip(SKIP_1) | instid1(VALU_DEP_1)
	v_fma_f32 v2, v44, v3, -v45
	v_fma_f32 v3, v46, v9, -v47
	v_dual_mul_f32 v65, v31, v53 :: v_dual_sub_f32 v40, v2, v3
	s_delay_alu instid0(VALU_DEP_1) | instskip(SKIP_4) | instid1(VALU_DEP_2)
	v_fmac_f32_e32 v65, v30, v52
	v_mul_f32_e32 v55, v20, v55
	v_add_f32_e32 v42, v2, v3
	v_dual_mul_f32 v53, v30, v53 :: v_dual_sub_f32 v30, v59, v60
	v_add_f32_e32 v20, v0, v1
	v_fma_f32 v6, v31, v52, -v53
	v_fmac_f32_e32 v63, v48, v4
	v_fma_f32 v4, v48, v5, -v49
	v_fma_f32 v5, v50, v11, -v51
	v_add_f32_e32 v50, v22, v65
	v_fma_f32 v7, v21, v54, -v55
	v_add_f32_e32 v9, v59, v60
	s_delay_alu instid0(VALU_DEP_4) | instskip(NEXT) | instid1(VALU_DEP_3)
	v_dual_add_f32 v11, v29, v0 :: v_dual_add_f32 v48, v4, v5
	v_dual_add_f32 v53, v23, v6 :: v_dual_sub_f32 v52, v6, v7
	v_dual_add_f32 v31, v61, v62 :: v_dual_add_f32 v0, v8, v60
	v_add_f32_e32 v6, v6, v7
	v_dual_add_f32 v44, v24, v63 :: v_dual_add_f32 v21, v26, v61
	v_dual_sub_f32 v54, v65, v66 :: v_dual_add_f32 v45, v63, v64
	s_delay_alu instid0(VALU_DEP_4)
	v_fma_f32 v26, -0.5, v31, v26
	v_add_f32_e32 v51, v65, v66
	v_dual_add_f32 v41, v27, v2 :: v_dual_sub_f32 v46, v4, v5
	v_add_f32_e32 v47, v25, v4
	v_fma_f32 v28, -0.5, v9, v28
	v_add_f32_e32 v2, v21, v62
	v_fma_f32 v24, -0.5, v45, v24
	v_fmac_f32_e32 v29, -0.5, v20
	v_dual_fmac_f32 v23, -0.5, v6 :: v_dual_fmamk_f32 v8, v40, 0xbf5db3d7, v26
	v_dual_sub_f32 v43, v61, v62 :: v_dual_fmac_f32 v22, -0.5, v51
	v_fmac_f32_e32 v27, -0.5, v42
	v_dual_sub_f32 v49, v63, v64 :: v_dual_fmamk_f32 v6, v10, 0xbf5db3d7, v28
	v_fmac_f32_e32 v25, -0.5, v48
	v_dual_add_f32 v1, v11, v1 :: v_dual_fmac_f32 v28, 0x3f5db3d7, v10
	v_dual_add_f32 v20, v50, v66 :: v_dual_add_f32 v5, v47, v5
	v_dual_fmac_f32 v26, 0x3f5db3d7, v40 :: v_dual_add_f32 v21, v53, v7
	v_fmamk_f32 v10, v46, 0xbf5db3d7, v24
	v_fmamk_f32 v7, v30, 0x3f5db3d7, v29
	v_dual_fmac_f32 v29, 0xbf5db3d7, v30 :: v_dual_fmamk_f32 v30, v52, 0xbf5db3d7, v22
	v_dual_fmac_f32 v22, 0x3f5db3d7, v52 :: v_dual_fmamk_f32 v31, v54, 0x3f5db3d7, v23
	v_dual_fmac_f32 v23, 0xbf5db3d7, v54 :: v_dual_add_f32 v4, v44, v64
	v_dual_add_f32 v3, v41, v3 :: v_dual_fmac_f32 v24, 0x3f5db3d7, v46
	v_fmamk_f32 v9, v43, 0x3f5db3d7, v27
	v_fmac_f32_e32 v27, 0xbf5db3d7, v43
	v_fmamk_f32 v11, v49, 0x3f5db3d7, v25
	v_fmac_f32_e32 v25, 0xbf5db3d7, v49
	ds_store_2addr_b64 v56, v[0:1], v[6:7] offset1:10
	ds_store_b64 v56, v[28:29] offset:160
	ds_store_2addr_b64 v57, v[2:3], v[8:9] offset1:10
	ds_store_b64 v57, v[26:27] offset:160
	;; [unrolled: 2-line block ×3, first 2 shown]
	s_and_saveexec_b32 s1, s0
	s_cbranch_execz .LBB0_17
; %bb.16:
	v_mul_lo_u16 v0, v38, 30
	v_lshlrev_b32_e32 v1, 3, v39
	s_delay_alu instid0(VALU_DEP_2) | instskip(NEXT) | instid1(VALU_DEP_1)
	v_and_b32_e32 v0, 0xffff, v0
	v_lshlrev_b32_e32 v0, 3, v0
	s_delay_alu instid0(VALU_DEP_1)
	v_add3_u32 v0, 0, v1, v0
	ds_store_2addr_b64 v0, v[20:21], v[30:31] offset1:10
	ds_store_b64 v0, v[22:23] offset:160
.LBB0_17:
	s_wait_alu 0xfffe
	s_or_b32 exec_lo, exec_lo, s1
	v_add_nc_u32_e32 v0, 0x1000, v34
	v_add_nc_u32_e32 v1, 0x1a00, v34
	;; [unrolled: 1-line block ×3, first 2 shown]
	global_wb scope:SCOPE_SE
	s_wait_dscnt 0x0
	s_barrier_signal -1
	s_barrier_wait -1
	global_inv scope:SCOPE_SE
	ds_load_2addr_b64 v[8:11], v0 offset0:28 offset1:190
	ds_load_2addr_b64 v[0:3], v1 offset0:32 offset1:248
	ds_load_b64 v[26:27], v37
	ds_load_2addr_b64 v[4:7], v4 offset0:90 offset1:252
	ds_load_b64 v[28:29], v34
	ds_load_b64 v[24:25], v36
	s_and_saveexec_b32 s1, s0
	s_cbranch_execz .LBB0_19
; %bb.18:
	ds_load_b64 v[20:21], v35
	ds_load_b64 v[30:31], v34 offset:8208
	ds_load_b64 v[22:23], v34 offset:12528
.LBB0_19:
	s_wait_alu 0xfffe
	s_or_b32 exec_lo, exec_lo, s1
	v_mul_lo_u16 v18, 0x89, v18
	v_mul_u32_u24_e32 v38, 0x8889, v13
	v_mul_u32_u24_e32 v33, 0x8889, v33
	s_delay_alu instid0(VALU_DEP_3) | instskip(NEXT) | instid1(VALU_DEP_3)
	v_lshrrev_b16 v54, 12, v18
	v_lshrrev_b32_e32 v55, 20, v38
	v_mul_u32_u24_e32 v18, 0x8889, v32
	s_delay_alu instid0(VALU_DEP_3) | instskip(NEXT) | instid1(VALU_DEP_3)
	v_mul_lo_u16 v32, v54, 30
	v_mul_lo_u16 v38, v55, 30
	s_delay_alu instid0(VALU_DEP_3)
	v_lshrrev_b32_e32 v56, 20, v18
	v_lshrrev_b32_e32 v18, 20, v33
	v_mul_u32_u24_e32 v55, 0x2d0, v55
	v_sub_nc_u16 v32, v12, v32
	v_sub_nc_u16 v38, v17, v38
	v_mul_lo_u16 v33, v56, 30
	v_mul_u32_u24_e32 v56, 0x2d0, v56
	s_delay_alu instid0(VALU_DEP_4) | instskip(NEXT) | instid1(VALU_DEP_4)
	v_and_b32_e32 v57, 0xff, v32
	v_and_b32_e32 v58, 0xffff, v38
	s_delay_alu instid0(VALU_DEP_4) | instskip(SKIP_1) | instid1(VALU_DEP_4)
	v_sub_nc_u16 v33, v19, v33
	v_mul_lo_u16 v32, v18, 30
	v_lshlrev_b32_e32 v38, 4, v57
	s_delay_alu instid0(VALU_DEP_4) | instskip(NEXT) | instid1(VALU_DEP_3)
	v_lshlrev_b32_e32 v42, 4, v58
	v_sub_nc_u16 v32, v16, v32
	s_clause 0x1
	global_load_b128 v[38:41], v38, s[4:5] offset:160
	global_load_b128 v[42:45], v42, s[4:5] offset:160
	v_and_b32_e32 v33, 0xffff, v33
	v_and_b32_e32 v54, 0xffff, v54
	;; [unrolled: 1-line block ×3, first 2 shown]
	s_delay_alu instid0(VALU_DEP_3) | instskip(SKIP_1) | instid1(VALU_DEP_1)
	v_lshlrev_b32_e32 v46, 4, v33
	v_lshlrev_b32_e32 v33, 3, v33
	v_add3_u32 v33, 0, v56, v33
	s_wait_loadcnt_dscnt 0x105
	v_mul_f32_e32 v56, v39, v9
	v_lshlrev_b32_e32 v57, 3, v57
	s_wait_loadcnt_dscnt 0x2
	v_mul_f32_e32 v59, v45, v5
	v_mul_f32_e32 v45, v45, v4
	v_mul_u32_u24_e32 v54, 0x2d0, v54
	v_dual_mul_f32 v39, v39, v8 :: v_dual_lshlrev_b32 v58, 3, v58
	v_fmac_f32_e32 v56, v38, v8
	s_delay_alu instid0(VALU_DEP_3)
	v_add3_u32 v54, 0, v54, v57
	v_mul_f32_e32 v57, v41, v3
	v_dual_mul_f32 v41, v41, v2 :: v_dual_lshlrev_b32 v50, 4, v32
	v_add3_u32 v55, 0, v55, v58
	v_mul_f32_e32 v58, v43, v11
	v_mul_f32_e32 v43, v43, v10
	s_clause 0x1
	global_load_b128 v[46:49], v46, s[4:5] offset:160
	global_load_b128 v[50:53], v50, s[4:5] offset:160
	v_fma_f32 v8, v38, v9, -v39
	v_fma_f32 v3, v40, v3, -v41
	global_wb scope:SCOPE_SE
	s_wait_loadcnt_dscnt 0x0
	s_barrier_signal -1
	s_barrier_wait -1
	global_inv scope:SCOPE_SE
	v_fmac_f32_e32 v58, v42, v10
	v_add_f32_e32 v10, v29, v8
	v_dual_mul_f32 v61, v49, v7 :: v_dual_mul_f32 v60, v47, v1
	v_mul_f32_e32 v49, v49, v6
	v_mul_f32_e32 v47, v47, v0
	;; [unrolled: 1-line block ×6, first 2 shown]
	v_dual_fmac_f32 v57, v40, v2 :: v_dual_fmac_f32 v60, v46, v0
	v_fma_f32 v2, v42, v11, -v43
	v_dual_fmac_f32 v59, v44, v4 :: v_dual_fmac_f32 v62, v30, v50
	v_fma_f32 v4, v44, v5, -v45
	v_fma_f32 v0, v46, v1, -v47
	v_fmac_f32_e32 v61, v48, v6
	v_fma_f32 v1, v48, v7, -v49
	v_fma_f32 v5, v31, v50, -v51
	v_dual_fmac_f32 v63, v22, v52 :: v_dual_sub_f32 v30, v56, v57
	v_fma_f32 v6, v23, v52, -v53
	v_dual_add_f32 v7, v28, v56 :: v_dual_add_f32 v38, v27, v2
	v_dual_add_f32 v9, v56, v57 :: v_dual_sub_f32 v40, v58, v59
	v_dual_sub_f32 v23, v8, v3 :: v_dual_add_f32 v44, v25, v0
	v_add_f32_e32 v8, v8, v3
	v_add_f32_e32 v22, v58, v59
	v_dual_add_f32 v11, v26, v58 :: v_dual_add_f32 v42, v60, v61
	v_dual_add_f32 v41, v24, v60 :: v_dual_add_f32 v48, v62, v63
	v_add_f32_e32 v45, v0, v1
	v_add_f32_e32 v47, v20, v62
	;; [unrolled: 1-line block ×3, first 2 shown]
	v_dual_add_f32 v39, v2, v4 :: v_dual_add_f32 v50, v21, v5
	v_dual_sub_f32 v31, v2, v4 :: v_dual_sub_f32 v46, v60, v61
	v_dual_sub_f32 v43, v0, v1 :: v_dual_sub_f32 v52, v62, v63
	v_dual_add_f32 v2, v7, v57 :: v_dual_sub_f32 v49, v5, v6
	v_fma_f32 v28, -0.5, v9, v28
	v_dual_add_f32 v3, v10, v3 :: v_dual_add_f32 v0, v41, v61
	v_dual_fmac_f32 v29, -0.5, v8 :: v_dual_add_f32 v10, v11, v59
	v_add_f32_e32 v11, v38, v4
	v_fma_f32 v24, -0.5, v42, v24
	v_dual_fmac_f32 v25, -0.5, v45 :: v_dual_add_f32 v4, v47, v63
	v_dual_fmac_f32 v20, -0.5, v48 :: v_dual_fmac_f32 v21, -0.5, v51
	v_fma_f32 v26, -0.5, v22, v26
	v_fmac_f32_e32 v27, -0.5, v39
	v_add_f32_e32 v1, v44, v1
	v_dual_add_f32 v5, v50, v6 :: v_dual_fmamk_f32 v22, v23, 0xbf5db3d7, v28
	v_dual_fmac_f32 v28, 0x3f5db3d7, v23 :: v_dual_fmamk_f32 v23, v30, 0x3f5db3d7, v29
	v_fmamk_f32 v6, v43, 0xbf5db3d7, v24
	v_dual_fmac_f32 v24, 0x3f5db3d7, v43 :: v_dual_fmamk_f32 v7, v46, 0x3f5db3d7, v25
	v_dual_fmac_f32 v25, 0xbf5db3d7, v46 :: v_dual_fmamk_f32 v8, v49, 0xbf5db3d7, v20
	;; [unrolled: 1-line block ×3, first 2 shown]
	v_fmac_f32_e32 v21, 0xbf5db3d7, v52
	v_dual_fmac_f32 v29, 0xbf5db3d7, v30 :: v_dual_fmamk_f32 v30, v31, 0xbf5db3d7, v26
	v_dual_fmac_f32 v26, 0x3f5db3d7, v31 :: v_dual_fmamk_f32 v31, v40, 0x3f5db3d7, v27
	v_fmac_f32_e32 v27, 0xbf5db3d7, v40
	ds_store_2addr_b64 v54, v[2:3], v[22:23] offset1:30
	ds_store_b64 v54, v[28:29] offset:480
	ds_store_2addr_b64 v55, v[10:11], v[30:31] offset1:30
	ds_store_b64 v55, v[26:27] offset:480
	;; [unrolled: 2-line block ×3, first 2 shown]
	s_and_saveexec_b32 s1, s0
	s_cbranch_execz .LBB0_21
; %bb.20:
	v_mul_lo_u16 v2, 0x5a, v18
	v_lshlrev_b32_e32 v3, 3, v32
	s_delay_alu instid0(VALU_DEP_2) | instskip(NEXT) | instid1(VALU_DEP_1)
	v_and_b32_e32 v2, 0xffff, v2
	v_lshlrev_b32_e32 v2, 3, v2
	s_delay_alu instid0(VALU_DEP_1)
	v_add3_u32 v2, 0, v3, v2
	ds_store_2addr_b64 v2, v[4:5], v[8:9] offset1:30
	ds_store_b64 v2, v[20:21] offset:480
.LBB0_21:
	s_wait_alu 0xfffe
	s_or_b32 exec_lo, exec_lo, s1
	global_wb scope:SCOPE_SE
	s_wait_dscnt 0x0
	s_barrier_signal -1
	s_barrier_wait -1
	global_inv scope:SCOPE_SE
	ds_load_b64 v[2:3], v34
	ds_load_b64 v[30:31], v34 offset:2160
	ds_load_b64 v[28:29], v34 offset:4320
	;; [unrolled: 1-line block ×5, first 2 shown]
	v_cmp_gt_u32_e64 s1, 0x6c, v12
	s_delay_alu instid0(VALU_DEP_1)
	s_and_saveexec_b32 s2, s1
	s_cbranch_execz .LBB0_23
; %bb.22:
	ds_load_b64 v[0:1], v37
	ds_load_b64 v[6:7], v34 offset:3456
	ds_load_b64 v[24:25], v34 offset:5616
	;; [unrolled: 1-line block ×5, first 2 shown]
.LBB0_23:
	s_wait_alu 0xfffe
	s_or_b32 exec_lo, exec_lo, s2
	v_dual_mov_b32 v33, 0 :: v_dual_add_nc_u32 v18, 0xffffffa6, v12
	v_cmp_gt_u32_e64 s2, 0x5a, v12
	v_mul_u32_u24_e32 v13, 0x2d83, v13
	s_wait_alu 0xf1ff
	s_delay_alu instid0(VALU_DEP_2) | instskip(NEXT) | instid1(VALU_DEP_2)
	v_cndmask_b32_e64 v56, v18, v12, s2
	v_lshrrev_b32_e32 v13, 20, v13
	s_delay_alu instid0(VALU_DEP_2) | instskip(NEXT) | instid1(VALU_DEP_2)
	v_mul_i32_i24_e32 v32, 5, v56
	v_mul_lo_u16 v18, 0x5a, v13
	s_delay_alu instid0(VALU_DEP_2) | instskip(NEXT) | instid1(VALU_DEP_2)
	v_lshlrev_b64_e32 v[32:33], 3, v[32:33]
	v_sub_nc_u16 v18, v17, v18
	s_delay_alu instid0(VALU_DEP_2) | instskip(SKIP_1) | instid1(VALU_DEP_3)
	v_add_co_u32 v32, s2, s4, v32
	s_wait_alu 0xf1ff
	v_add_co_ci_u32_e64 v33, s2, s5, v33, s2
	v_cmp_lt_u32_e64 s2, 0x59, v12
	s_clause 0x1
	global_load_b128 v[38:41], v[32:33], off offset:640
	global_load_b128 v[42:45], v[32:33], off offset:656
	v_and_b32_e32 v18, 0xffff, v18
	s_wait_alu 0xf1ff
	v_cndmask_b32_e64 v57, 0, 0x10e0, s2
	v_lshlrev_b32_e32 v56, 3, v56
	global_load_b64 v[32:33], v[32:33], off offset:672
	s_wait_loadcnt_dscnt 0x204
	v_mul_f32_e32 v59, v39, v31
	v_mul_f32_e32 v39, v39, v30
	v_mul_u32_u24_e32 v46, 5, v18
	v_add3_u32 v56, 0, v57, v56
	s_wait_dscnt 0x3
	v_mul_f32_e32 v60, v41, v29
	v_mul_f32_e32 v41, v41, v28
	s_wait_loadcnt_dscnt 0x102
	v_dual_mul_f32 v61, v43, v27 :: v_dual_lshlrev_b32 v54, 3, v46
	s_clause 0x2
	global_load_b128 v[46:49], v54, s[4:5] offset:640
	global_load_b128 v[50:53], v54, s[4:5] offset:656
	global_load_b64 v[54:55], v54, s[4:5] offset:672
	v_add_nc_u32_e32 v57, 0x400, v56
	v_dual_mul_f32 v43, v43, v26 :: v_dual_add_nc_u32 v58, 0x800, v56
	s_wait_dscnt 0x1
	v_mul_f32_e32 v62, v45, v23
	v_dual_mul_f32 v45, v45, v22 :: v_dual_fmac_f32 v60, v40, v28
	s_wait_loadcnt_dscnt 0x300
	v_mul_f32_e32 v63, v33, v11
	v_mul_f32_e32 v33, v33, v10
	v_fma_f32 v28, v40, v29, -v41
	v_fmac_f32_e32 v62, v44, v22
	v_fmac_f32_e32 v59, v38, v30
	v_fma_f32 v31, v38, v31, -v39
	v_fmac_f32_e32 v61, v42, v26
	v_fma_f32 v26, v42, v27, -v43
	v_fma_f32 v22, v44, v23, -v45
	v_dual_fmac_f32 v63, v32, v10 :: v_dual_add_f32 v44, v3, v28
	v_fma_f32 v10, v32, v11, -v33
	global_wb scope:SCOPE_SE
	s_wait_loadcnt 0x0
	s_barrier_signal -1
	s_barrier_wait -1
	global_inv scope:SCOPE_SE
	v_dual_add_f32 v42, v60, v62 :: v_dual_mul_f32 v23, v7, v47
	v_dual_mul_f32 v27, v25, v49 :: v_dual_mul_f32 v40, v20, v55
	v_mul_f32_e32 v30, v5, v51
	v_mul_f32_e32 v33, v9, v53
	;; [unrolled: 1-line block ×7, first 2 shown]
	v_fmac_f32_e32 v27, v24, v48
	v_fmac_f32_e32 v30, v4, v50
	v_add_f32_e32 v53, v31, v26
	v_add_f32_e32 v41, v2, v60
	v_fma_f32 v24, -0.5, v42, v2
	v_add_f32_e32 v2, v44, v22
	v_fmac_f32_e32 v39, v20, v54
	v_fmac_f32_e32 v33, v8, v52
	v_fma_f32 v4, v5, v50, -v32
	v_fma_f32 v5, v9, v52, -v38
	s_delay_alu instid0(VALU_DEP_4) | instskip(NEXT) | instid1(VALU_DEP_4)
	v_dual_sub_f32 v42, v30, v39 :: v_dual_sub_f32 v43, v28, v22
	v_add_f32_e32 v20, v27, v33
	v_add_f32_e32 v28, v28, v22
	v_fmac_f32_e32 v23, v6, v46
	v_fma_f32 v46, v7, v46, -v11
	v_fmamk_f32 v44, v43, 0xbf5db3d7, v24
	v_fma_f32 v7, v21, v54, -v40
	v_sub_f32_e32 v51, v26, v10
	v_add_f32_e32 v26, v26, v10
	v_fma_f32 v6, v25, v48, -v29
	v_sub_f32_e32 v45, v60, v62
	v_dual_sub_f32 v55, v61, v63 :: v_dual_add_f32 v40, v46, v4
	v_add_f32_e32 v49, v61, v63
	s_delay_alu instid0(VALU_DEP_4)
	v_dual_sub_f32 v21, v6, v5 :: v_dual_add_f32 v22, v1, v6
	v_add_f32_e32 v6, v6, v5
	v_fmac_f32_e32 v24, 0x3f5db3d7, v43
	v_add_f32_e32 v32, v30, v39
	v_dual_add_f32 v10, v53, v10 :: v_dual_add_f32 v47, v59, v61
	v_add_f32_e32 v8, v41, v62
	v_dual_fmac_f32 v1, -0.5, v6 :: v_dual_add_f32 v6, v40, v7
	v_add_f32_e32 v41, v4, v7
	s_delay_alu instid0(VALU_DEP_4) | instskip(SKIP_1) | instid1(VALU_DEP_3)
	v_dual_fmac_f32 v3, -0.5, v28 :: v_dual_add_f32 v28, v2, v10
	v_add_f32_e32 v11, v0, v27
	v_dual_add_f32 v9, v47, v63 :: v_dual_fmac_f32 v46, -0.5, v41
	v_fmac_f32_e32 v31, -0.5, v26
	v_dual_add_f32 v26, v23, v30 :: v_dual_fmac_f32 v59, -0.5, v49
	v_dual_fmac_f32 v0, -0.5, v20 :: v_dual_sub_f32 v25, v27, v33
	v_sub_f32_e32 v38, v4, v7
	s_delay_alu instid0(VALU_DEP_3)
	v_add_f32_e32 v4, v26, v39
	v_sub_f32_e32 v30, v2, v10
	v_dual_add_f32 v2, v11, v33 :: v_dual_fmamk_f32 v43, v45, 0x3f5db3d7, v3
	v_fmamk_f32 v47, v55, 0x3f5db3d7, v31
	v_fmac_f32_e32 v3, 0xbf5db3d7, v45
	v_fmamk_f32 v45, v51, 0xbf5db3d7, v59
	v_fmamk_f32 v11, v42, 0x3f5db3d7, v46
	v_fmac_f32_e32 v46, 0xbf5db3d7, v42
	v_dual_sub_f32 v20, v2, v4 :: v_dual_fmac_f32 v31, 0xbf5db3d7, v55
	v_add_f32_e32 v27, v8, v9
	s_delay_alu instid0(VALU_DEP_3) | instskip(SKIP_4) | instid1(VALU_DEP_4)
	v_dual_add_f32 v5, v22, v5 :: v_dual_mul_f32 v26, -0.5, v46
	v_mul_f32_e32 v41, 0.5, v47
	v_mul_f32_e32 v22, 0xbf5db3d7, v47
	v_dual_mul_f32 v10, 0xbf5db3d7, v46 :: v_dual_sub_f32 v29, v8, v9
	v_fmamk_f32 v8, v25, 0x3f5db3d7, v1
	v_fmac_f32_e32 v41, 0x3f5db3d7, v45
	v_fmac_f32_e32 v23, -0.5, v32
	v_fmac_f32_e32 v1, 0xbf5db3d7, v25
	v_mul_f32_e32 v9, 0xbf5db3d7, v11
	v_dual_fmac_f32 v59, 0x3f5db3d7, v51 :: v_dual_fmac_f32 v22, 0.5, v45
	s_delay_alu instid0(VALU_DEP_4) | instskip(SKIP_3) | instid1(VALU_DEP_4)
	v_dual_add_f32 v32, v43, v41 :: v_dual_fmamk_f32 v25, v38, 0xbf5db3d7, v23
	v_fmamk_f32 v7, v21, 0xbf5db3d7, v0
	v_fmac_f32_e32 v23, 0x3f5db3d7, v38
	v_dual_mul_f32 v11, 0.5, v11 :: v_dual_fmac_f32 v0, 0x3f5db3d7, v21
	v_fmac_f32_e32 v9, 0.5, v25
	v_dual_mul_f32 v33, 0xbf5db3d7, v31 :: v_dual_sub_f32 v40, v44, v22
	s_delay_alu instid0(VALU_DEP_4) | instskip(SKIP_1) | instid1(VALU_DEP_4)
	v_fmac_f32_e32 v10, -0.5, v23
	v_mul_f32_e32 v47, -0.5, v31
	v_dual_add_f32 v31, v44, v22 :: v_dual_sub_f32 v22, v7, v9
	s_delay_alu instid0(VALU_DEP_4) | instskip(SKIP_3) | instid1(VALU_DEP_4)
	v_fmac_f32_e32 v33, -0.5, v59
	v_dual_sub_f32 v21, v5, v6 :: v_dual_fmac_f32 v26, 0x3f5db3d7, v23
	v_fmac_f32_e32 v11, 0x3f5db3d7, v25
	v_sub_f32_e32 v41, v43, v41
	v_add_f32_e32 v38, v24, v33
	v_sub_f32_e32 v42, v24, v33
	v_dual_sub_f32 v24, v0, v10 :: v_dual_fmac_f32 v47, 0x3f5db3d7, v59
	v_sub_f32_e32 v23, v8, v11
	v_sub_f32_e32 v25, v1, v26
	s_delay_alu instid0(VALU_DEP_3)
	v_add_f32_e32 v39, v3, v47
	v_sub_f32_e32 v43, v3, v47
	ds_store_2addr_b64 v56, v[27:28], v[31:32] offset1:90
	ds_store_2addr_b64 v57, v[38:39], v[29:30] offset0:52 offset1:142
	ds_store_2addr_b64 v58, v[40:41], v[42:43] offset0:104 offset1:194
	s_and_saveexec_b32 s2, s1
	s_cbranch_execz .LBB0_25
; %bb.24:
	v_mul_lo_u16 v3, 0x21c, v13
	v_dual_add_f32 v8, v8, v11 :: v_dual_lshlrev_b32 v13, 3, v18
	v_dual_add_f32 v7, v7, v9 :: v_dual_add_f32 v0, v0, v10
	s_delay_alu instid0(VALU_DEP_3) | instskip(NEXT) | instid1(VALU_DEP_1)
	v_dual_add_f32 v2, v2, v4 :: v_dual_and_b32 v3, 0xffff, v3
	v_lshlrev_b32_e32 v3, 3, v3
	s_delay_alu instid0(VALU_DEP_1) | instskip(SKIP_1) | instid1(VALU_DEP_2)
	v_add3_u32 v11, 0, v13, v3
	v_add_f32_e32 v3, v5, v6
	v_dual_add_f32 v1, v1, v26 :: v_dual_add_nc_u32 v4, 0x400, v11
	v_add_nc_u32_e32 v5, 0x800, v11
	ds_store_2addr_b64 v11, v[2:3], v[7:8] offset1:90
	ds_store_2addr_b64 v4, v[0:1], v[20:21] offset0:52 offset1:142
	ds_store_2addr_b64 v5, v[22:23], v[24:25] offset0:104 offset1:194
.LBB0_25:
	s_wait_alu 0xfffe
	s_or_b32 exec_lo, exec_lo, s2
	v_add_nc_u32_e32 v0, 0x1000, v34
	v_add_nc_u32_e32 v1, 0x1a00, v34
	;; [unrolled: 1-line block ×3, first 2 shown]
	global_wb scope:SCOPE_SE
	s_wait_dscnt 0x0
	s_barrier_signal -1
	s_barrier_wait -1
	global_inv scope:SCOPE_SE
	ds_load_2addr_b64 v[8:11], v0 offset0:28 offset1:190
	ds_load_2addr_b64 v[0:3], v1 offset0:32 offset1:248
	ds_load_b64 v[28:29], v37
	ds_load_2addr_b64 v[4:7], v4 offset0:90 offset1:252
	ds_load_b64 v[30:31], v34
	ds_load_b64 v[26:27], v36
	s_and_saveexec_b32 s1, s0
	s_cbranch_execz .LBB0_27
; %bb.26:
	ds_load_b64 v[20:21], v35
	ds_load_b64 v[22:23], v34 offset:8208
	ds_load_b64 v[24:25], v34 offset:12528
.LBB0_27:
	s_wait_alu 0xfffe
	s_or_b32 exec_lo, exec_lo, s1
	v_dual_mov_b32 v33, 0 :: v_dual_lshlrev_b32 v32, 1, v12
	s_delay_alu instid0(VALU_DEP_1) | instskip(NEXT) | instid1(VALU_DEP_1)
	v_lshlrev_b64_e32 v[38:39], 3, v[32:33]
	v_add_co_u32 v38, s1, s4, v38
	s_wait_alu 0xf1ff
	s_delay_alu instid0(VALU_DEP_2) | instskip(SKIP_2) | instid1(VALU_DEP_1)
	v_add_co_ci_u32_e64 v39, s1, s5, v39, s1
	global_load_b128 v[38:41], v[38:39], off offset:4240
	v_lshlrev_b32_e32 v32, 1, v17
	v_lshlrev_b64_e32 v[42:43], 3, v[32:33]
	s_delay_alu instid0(VALU_DEP_1) | instskip(SKIP_1) | instid1(VALU_DEP_2)
	v_add_co_u32 v42, s1, s4, v42
	s_wait_alu 0xf1ff
	v_add_co_ci_u32_e64 v43, s1, s5, v43, s1
	global_load_b128 v[42:45], v[42:43], off offset:4240
	s_wait_loadcnt_dscnt 0x105
	v_dual_mul_f32 v13, v39, v9 :: v_dual_lshlrev_b32 v32, 1, v19
	s_delay_alu instid0(VALU_DEP_1) | instskip(SKIP_1) | instid1(VALU_DEP_2)
	v_lshlrev_b64_e32 v[46:47], 3, v[32:33]
	s_wait_dscnt 0x4
	v_dual_mul_f32 v32, v41, v3 :: v_dual_fmac_f32 v13, v38, v8
	s_delay_alu instid0(VALU_DEP_2) | instskip(SKIP_1) | instid1(VALU_DEP_3)
	v_add_co_u32 v46, s1, s4, v46
	s_wait_alu 0xf1ff
	v_add_co_ci_u32_e64 v47, s1, s5, v47, s1
	s_delay_alu instid0(VALU_DEP_3)
	v_fmac_f32_e32 v32, v40, v2
	global_load_b128 v[46:49], v[46:47], off offset:4240
	v_dual_mul_f32 v18, v39, v8 :: v_dual_mul_f32 v39, v41, v2
	global_wb scope:SCOPE_SE
	s_wait_loadcnt_dscnt 0x0
	s_barrier_signal -1
	v_mul_f32_e32 v2, v43, v11
	v_fma_f32 v8, v38, v9, -v18
	v_dual_mul_f32 v9, v43, v10 :: v_dual_mul_f32 v18, v45, v5
	v_fma_f32 v3, v40, v3, -v39
	v_dual_mul_f32 v38, v45, v4 :: v_dual_add_f32 v39, v30, v13
	s_delay_alu instid0(VALU_DEP_3) | instskip(SKIP_1) | instid1(VALU_DEP_3)
	v_fma_f32 v9, v42, v11, -v9
	s_barrier_wait -1
	v_sub_f32_e32 v41, v8, v3
	s_delay_alu instid0(VALU_DEP_3)
	v_fma_f32 v5, v44, v5, -v38
	v_add_f32_e32 v40, v13, v32
	v_dual_sub_f32 v13, v13, v32 :: v_dual_fmac_f32 v2, v42, v10
	v_add_f32_e32 v42, v31, v8
	v_add_f32_e32 v8, v8, v3
	v_fmac_f32_e32 v18, v44, v4
	global_inv scope:SCOPE_SE
	v_fmac_f32_e32 v31, -0.5, v8
	v_dual_mul_f32 v4, v47, v0 :: v_dual_mul_f32 v11, v49, v7
	v_mul_f32_e32 v10, v47, v1
	v_mul_f32_e32 v38, v49, v6
	s_delay_alu instid0(VALU_DEP_3) | instskip(NEXT) | instid1(VALU_DEP_2)
	v_fmac_f32_e32 v11, v48, v6
	v_fma_f32 v38, v48, v7, -v38
	v_sub_f32_e32 v7, v9, v5
	v_fma_f32 v43, v46, v1, -v4
	v_add_f32_e32 v8, v29, v9
	v_dual_add_f32 v9, v9, v5 :: v_dual_fmac_f32 v10, v46, v0
	v_dual_add_f32 v0, v39, v32 :: v_dual_add_f32 v1, v42, v3
	v_fmamk_f32 v3, v13, 0x3f5db3d7, v31
	v_fmac_f32_e32 v31, 0xbf5db3d7, v13
	s_delay_alu instid0(VALU_DEP_4)
	v_fmac_f32_e32 v29, -0.5, v9
	v_add_f32_e32 v9, v10, v11
	v_sub_f32_e32 v13, v43, v38
	v_dual_add_f32 v5, v8, v5 :: v_dual_add_f32 v8, v26, v10
	v_dual_add_f32 v39, v43, v38 :: v_dual_sub_f32 v10, v10, v11
	v_sub_f32_e32 v32, v2, v18
	v_add_f32_e32 v6, v2, v18
	v_add_f32_e32 v4, v28, v2
	v_fma_f32 v30, -0.5, v40, v30
	v_fma_f32 v26, -0.5, v9, v26
	v_add_f32_e32 v8, v8, v11
	v_fma_f32 v28, -0.5, v6, v28
	s_delay_alu instid0(VALU_DEP_1) | instskip(SKIP_4) | instid1(VALU_DEP_2)
	v_fmamk_f32 v6, v7, 0xbf5db3d7, v28
	v_dual_fmac_f32 v28, 0x3f5db3d7, v7 :: v_dual_fmamk_f32 v7, v32, 0x3f5db3d7, v29
	v_dual_fmac_f32 v29, 0xbf5db3d7, v32 :: v_dual_add_f32 v4, v4, v18
	v_add_f32_e32 v18, v27, v43
	v_dual_fmac_f32 v27, -0.5, v39 :: v_dual_fmamk_f32 v2, v41, 0xbf5db3d7, v30
	v_dual_fmac_f32 v30, 0x3f5db3d7, v41 :: v_dual_add_f32 v9, v18, v38
	ds_store_b64 v34, v[0:1]
	ds_store_b64 v34, v[2:3] offset:4320
	ds_store_b64 v34, v[30:31] offset:8640
	v_fmamk_f32 v1, v10, 0x3f5db3d7, v27
	v_fmamk_f32 v0, v13, 0xbf5db3d7, v26
	v_fmac_f32_e32 v26, 0x3f5db3d7, v13
	v_fmac_f32_e32 v27, 0xbf5db3d7, v10
	ds_store_b64 v37, v[4:5]
	ds_store_b64 v37, v[6:7] offset:4320
	ds_store_b64 v37, v[28:29] offset:8640
	ds_store_b64 v36, v[8:9]
	ds_store_b64 v36, v[0:1] offset:4320
	ds_store_b64 v36, v[26:27] offset:8640
	s_and_saveexec_b32 s1, s0
	s_cbranch_execz .LBB0_29
; %bb.28:
	v_subrev_nc_u32_e32 v0, 54, v12
	s_delay_alu instid0(VALU_DEP_1) | instskip(NEXT) | instid1(VALU_DEP_1)
	v_cndmask_b32_e64 v0, v0, v16, s0
	v_lshlrev_b32_e32 v32, 1, v0
	s_delay_alu instid0(VALU_DEP_1) | instskip(NEXT) | instid1(VALU_DEP_1)
	v_lshlrev_b64_e32 v[0:1], 3, v[32:33]
	v_add_co_u32 v0, s0, s4, v0
	s_wait_alu 0xf1ff
	s_delay_alu instid0(VALU_DEP_2) | instskip(SKIP_4) | instid1(VALU_DEP_1)
	v_add_co_ci_u32_e64 v1, s0, s5, v1, s0
	global_load_b128 v[0:3], v[0:1], off offset:4240
	s_wait_loadcnt 0x0
	v_mul_f32_e32 v5, v24, v3
	v_mul_f32_e32 v6, v25, v3
	v_fmac_f32_e32 v6, v24, v2
	v_mul_f32_e32 v4, v22, v1
	v_mul_f32_e32 v1, v23, v1
	s_delay_alu instid0(VALU_DEP_1) | instskip(NEXT) | instid1(VALU_DEP_1)
	v_fmac_f32_e32 v1, v22, v0
	v_sub_f32_e32 v7, v1, v6
	s_delay_alu instid0(VALU_DEP_4) | instskip(SKIP_1) | instid1(VALU_DEP_1)
	v_fma_f32 v3, v23, v0, -v4
	v_fma_f32 v4, v25, v2, -v5
	v_dual_add_f32 v5, v21, v3 :: v_dual_add_f32 v0, v3, v4
	v_dual_add_f32 v2, v1, v6 :: v_dual_sub_f32 v9, v3, v4
	s_delay_alu instid0(VALU_DEP_2) | instskip(NEXT) | instid1(VALU_DEP_3)
	v_dual_add_f32 v8, v20, v1 :: v_dual_add_f32 v3, v5, v4
	v_fma_f32 v1, -0.5, v0, v21
	s_delay_alu instid0(VALU_DEP_3) | instskip(NEXT) | instid1(VALU_DEP_2)
	v_fma_f32 v0, -0.5, v2, v20
	v_dual_add_f32 v2, v8, v6 :: v_dual_fmamk_f32 v5, v7, 0xbf5db3d7, v1
	s_delay_alu instid0(VALU_DEP_2)
	v_dual_fmac_f32 v1, 0x3f5db3d7, v7 :: v_dual_fmamk_f32 v4, v9, 0x3f5db3d7, v0
	v_fmac_f32_e32 v0, 0xbf5db3d7, v9
	ds_store_b64 v34, v[2:3] offset:3888
	ds_store_b64 v34, v[0:1] offset:8208
	;; [unrolled: 1-line block ×3, first 2 shown]
.LBB0_29:
	s_wait_alu 0xfffe
	s_or_b32 exec_lo, exec_lo, s1
	global_wb scope:SCOPE_SE
	s_wait_dscnt 0x0
	s_barrier_signal -1
	s_barrier_wait -1
	global_inv scope:SCOPE_SE
	ds_load_b64 v[4:5], v34
	v_lshlrev_b32_e32 v0, 3, v12
	s_mov_b32 s1, exec_lo
                                        ; implicit-def: $vgpr7
                                        ; implicit-def: $vgpr8
                                        ; implicit-def: $vgpr2_vgpr3
	s_delay_alu instid0(VALU_DEP_1)
	v_sub_nc_u32_e32 v6, 0, v0
                                        ; implicit-def: $vgpr0
	v_cmpx_ne_u32_e32 0, v12
	s_wait_alu 0xfffe
	s_xor_b32 s1, exec_lo, s1
	s_cbranch_execz .LBB0_31
; %bb.30:
	ds_load_b64 v[2:3], v6 offset:12960
	s_wait_dscnt 0x0
	v_dual_mov_b32 v13, 0 :: v_dual_add_f32 v8, v3, v5
	s_delay_alu instid0(VALU_DEP_1) | instskip(SKIP_2) | instid1(VALU_DEP_2)
	v_lshlrev_b64_e32 v[0:1], 3, v[12:13]
	v_dual_sub_f32 v7, v4, v2 :: v_dual_add_f32 v2, v2, v4
	v_sub_f32_e32 v3, v5, v3
	v_mul_f32_e32 v5, 0.5, v7
	s_delay_alu instid0(VALU_DEP_4)
	v_add_co_u32 v0, s0, s4, v0
	s_wait_alu 0xf1ff
	v_add_co_ci_u32_e64 v1, s0, s5, v1, s0
	v_mul_f32_e32 v3, 0.5, v3
	global_load_b64 v[0:1], v[0:1], off offset:12880
	s_wait_loadcnt 0x0
	v_dual_mul_f32 v9, 0.5, v8 :: v_dual_mul_f32 v4, v1, v5
	s_delay_alu instid0(VALU_DEP_1) | instskip(SKIP_1) | instid1(VALU_DEP_3)
	v_fma_f32 v8, v9, v1, v3
	v_fma_f32 v1, v9, v1, -v3
	v_fma_f32 v7, 0.5, v2, v4
	v_fma_f32 v2, v2, 0.5, -v4
	s_delay_alu instid0(VALU_DEP_4) | instskip(NEXT) | instid1(VALU_DEP_4)
	v_fma_f32 v8, -v0, v5, v8
	v_fma_f32 v1, -v0, v5, v1
                                        ; implicit-def: $vgpr4_vgpr5
	s_delay_alu instid0(VALU_DEP_4) | instskip(NEXT) | instid1(VALU_DEP_4)
	v_fmac_f32_e32 v7, v0, v9
	v_fma_f32 v0, -v0, v9, v2
	v_dual_mov_b32 v2, v12 :: v_dual_mov_b32 v3, v13
.LBB0_31:
	s_wait_alu 0xfffe
	s_and_not1_saveexec_b32 s0, s1
	s_cbranch_execz .LBB0_33
; %bb.32:
	s_wait_dscnt 0x0
	v_dual_mov_b32 v8, 0 :: v_dual_add_f32 v7, v4, v5
	v_mov_b32_e32 v2, 0
	v_dual_sub_f32 v0, v4, v5 :: v_dual_mov_b32 v3, 0
	ds_load_b32 v1, v8 offset:6484
	s_wait_dscnt 0x0
	v_xor_b32_e32 v4, 0x80000000, v1
	v_mov_b32_e32 v1, 0
	ds_store_b32 v8, v4 offset:6484
.LBB0_33:
	s_wait_alu 0xfffe
	s_or_b32 exec_lo, exec_lo, s0
	v_mov_b32_e32 v18, 0
	v_lshlrev_b64_e32 v[2:3], 3, v[2:3]
	s_wait_dscnt 0x0
	s_delay_alu instid0(VALU_DEP_2) | instskip(SKIP_1) | instid1(VALU_DEP_1)
	v_lshlrev_b64_e32 v[4:5], 3, v[17:18]
	v_dual_mov_b32 v20, v18 :: v_dual_mov_b32 v17, v18
	v_lshlrev_b64_e32 v[9:10], 3, v[19:20]
	s_delay_alu instid0(VALU_DEP_3) | instskip(SKIP_1) | instid1(VALU_DEP_4)
	v_add_co_u32 v4, s0, s4, v4
	s_wait_alu 0xf1ff
	v_add_co_ci_u32_e64 v5, s0, s5, v5, s0
	v_lshlrev_b64_e32 v[16:17], 3, v[16:17]
	s_delay_alu instid0(VALU_DEP_4)
	v_add_co_u32 v9, s0, s4, v9
	global_load_b64 v[4:5], v[4:5], off offset:12880
	s_wait_alu 0xf1ff
	v_add_co_ci_u32_e64 v10, s0, s5, v10, s0
	v_add_co_u32 v16, s0, s4, v16
	s_wait_alu 0xf1ff
	v_add_co_ci_u32_e64 v17, s0, s5, v17, s0
	global_load_b64 v[9:10], v[9:10], off offset:12880
	s_add_nc_u64 s[0:1], s[4:5], 0x3250
	global_load_b64 v[16:17], v[16:17], off offset:12880
	s_wait_alu 0xfffe
	v_add_co_u32 v18, s0, s0, v2
	s_wait_alu 0xf1ff
	v_add_co_ci_u32_e64 v19, s0, s1, v3, s0
	global_load_b64 v[18:19], v[18:19], off offset:5184
	ds_store_2addr_b32 v34, v7, v8 offset1:1
	ds_store_b64 v6, v[0:1] offset:12960
	ds_load_b64 v[0:1], v37
	ds_load_b64 v[7:8], v6 offset:11664
	s_wait_dscnt 0x0
	v_sub_f32_e32 v11, v0, v7
	v_add_f32_e32 v13, v1, v8
	v_dual_sub_f32 v1, v1, v8 :: v_dual_add_f32 v0, v0, v7
	s_delay_alu instid0(VALU_DEP_2) | instskip(NEXT) | instid1(VALU_DEP_2)
	v_dual_mul_f32 v8, 0.5, v11 :: v_dual_mul_f32 v11, 0.5, v13
	v_mul_f32_e32 v1, 0.5, v1
	s_wait_loadcnt 0x3
	s_delay_alu instid0(VALU_DEP_2) | instskip(NEXT) | instid1(VALU_DEP_2)
	v_mul_f32_e32 v7, v5, v8
	v_fma_f32 v13, v11, v5, v1
	v_fma_f32 v1, v11, v5, -v1
	s_delay_alu instid0(VALU_DEP_3) | instskip(SKIP_1) | instid1(VALU_DEP_4)
	v_fma_f32 v5, 0.5, v0, v7
	v_fma_f32 v0, v0, 0.5, -v7
	v_fma_f32 v7, -v4, v8, v13
	s_delay_alu instid0(VALU_DEP_4) | instskip(NEXT) | instid1(VALU_DEP_4)
	v_fma_f32 v1, -v4, v8, v1
	v_fmac_f32_e32 v5, v4, v11
	s_delay_alu instid0(VALU_DEP_4)
	v_fma_f32 v0, -v4, v11, v0
	ds_store_2addr_b32 v37, v5, v7 offset1:1
	ds_store_b64 v6, v[0:1] offset:11664
	ds_load_b64 v[0:1], v36
	ds_load_b64 v[4:5], v6 offset:10368
	s_wait_dscnt 0x0
	v_dual_sub_f32 v7, v0, v4 :: v_dual_add_f32 v8, v1, v5
	v_dual_sub_f32 v1, v1, v5 :: v_dual_add_f32 v0, v0, v4
	s_delay_alu instid0(VALU_DEP_2) | instskip(NEXT) | instid1(VALU_DEP_3)
	v_mul_f32_e32 v5, 0.5, v7
	v_mul_f32_e32 v7, 0.5, v8
	s_delay_alu instid0(VALU_DEP_3) | instskip(SKIP_1) | instid1(VALU_DEP_3)
	v_mul_f32_e32 v1, 0.5, v1
	s_wait_loadcnt 0x2
	v_mul_f32_e32 v4, v10, v5
	s_delay_alu instid0(VALU_DEP_2) | instskip(SKIP_1) | instid1(VALU_DEP_3)
	v_fma_f32 v8, v7, v10, v1
	v_fma_f32 v1, v7, v10, -v1
	v_fma_f32 v10, 0.5, v0, v4
	v_fma_f32 v0, v0, 0.5, -v4
	s_delay_alu instid0(VALU_DEP_4) | instskip(NEXT) | instid1(VALU_DEP_4)
	v_fma_f32 v4, -v9, v5, v8
	v_fma_f32 v1, -v9, v5, v1
	s_delay_alu instid0(VALU_DEP_4) | instskip(NEXT) | instid1(VALU_DEP_4)
	v_fmac_f32_e32 v10, v9, v7
	v_fma_f32 v0, -v9, v7, v0
	ds_store_2addr_b32 v36, v10, v4 offset1:1
	ds_store_b64 v6, v[0:1] offset:10368
	ds_load_b64 v[0:1], v35
	ds_load_b64 v[4:5], v6 offset:9072
	s_wait_dscnt 0x0
	v_dual_add_f32 v8, v1, v5 :: v_dual_sub_f32 v7, v0, v4
	v_dual_sub_f32 v1, v1, v5 :: v_dual_add_f32 v0, v0, v4
	s_delay_alu instid0(VALU_DEP_2) | instskip(NEXT) | instid1(VALU_DEP_3)
	v_mul_f32_e32 v5, 0.5, v7
	v_mul_f32_e32 v7, 0.5, v8
	s_delay_alu instid0(VALU_DEP_3) | instskip(SKIP_1) | instid1(VALU_DEP_3)
	v_mul_f32_e32 v1, 0.5, v1
	s_wait_loadcnt 0x1
	v_mul_f32_e32 v4, v17, v5
	s_delay_alu instid0(VALU_DEP_2) | instskip(SKIP_1) | instid1(VALU_DEP_3)
	v_fma_f32 v8, v7, v17, v1
	v_fma_f32 v1, v7, v17, -v1
	v_fma_f32 v9, 0.5, v0, v4
	v_fma_f32 v0, v0, 0.5, -v4
	s_delay_alu instid0(VALU_DEP_4) | instskip(NEXT) | instid1(VALU_DEP_4)
	v_fma_f32 v4, -v16, v5, v8
	v_fma_f32 v1, -v16, v5, v1
	s_delay_alu instid0(VALU_DEP_4) | instskip(NEXT) | instid1(VALU_DEP_4)
	v_fmac_f32_e32 v9, v16, v7
	v_fma_f32 v0, -v16, v7, v0
	ds_store_2addr_b32 v35, v9, v4 offset1:1
	ds_store_b64 v6, v[0:1] offset:9072
	ds_load_b64 v[0:1], v34 offset:5184
	ds_load_b64 v[4:5], v6 offset:7776
	s_wait_dscnt 0x0
	v_dual_sub_f32 v7, v0, v4 :: v_dual_add_f32 v8, v1, v5
	v_dual_sub_f32 v1, v1, v5 :: v_dual_add_f32 v0, v0, v4
	s_delay_alu instid0(VALU_DEP_2) | instskip(NEXT) | instid1(VALU_DEP_3)
	v_mul_f32_e32 v5, 0.5, v7
	v_mul_f32_e32 v7, 0.5, v8
	s_delay_alu instid0(VALU_DEP_3) | instskip(SKIP_1) | instid1(VALU_DEP_3)
	v_mul_f32_e32 v1, 0.5, v1
	s_wait_loadcnt 0x0
	v_mul_f32_e32 v4, v19, v5
	s_delay_alu instid0(VALU_DEP_2) | instskip(SKIP_1) | instid1(VALU_DEP_3)
	v_fma_f32 v8, v7, v19, v1
	v_fma_f32 v1, v7, v19, -v1
	v_fma_f32 v9, 0.5, v0, v4
	v_fma_f32 v4, v0, 0.5, -v4
	v_add_nc_u32_e32 v0, 0x1400, v34
	v_fma_f32 v8, -v18, v5, v8
	v_fma_f32 v5, -v18, v5, v1
	v_fmac_f32_e32 v9, v18, v7
	v_fma_f32 v4, -v18, v7, v4
	ds_store_2addr_b32 v0, v9, v8 offset0:16 offset1:17
	ds_store_b64 v6, v[4:5] offset:7776
	global_wb scope:SCOPE_SE
	s_wait_dscnt 0x0
	s_barrier_signal -1
	s_barrier_wait -1
	global_inv scope:SCOPE_SE
	s_and_saveexec_b32 s0, vcc_lo
	s_cbranch_execz .LBB0_36
; %bb.34:
	v_add_nc_u32_e32 v1, 0x800, v34
	v_add_nc_u32_e32 v13, 0x1c00, v34
	;; [unrolled: 1-line block ×3, first 2 shown]
	ds_load_2addr_b64 v[4:7], v34 offset1:162
	ds_load_2addr_b64 v[8:11], v1 offset0:68 offset1:230
	ds_load_2addr_b64 v[16:19], v0 offset0:8 offset1:170
	;; [unrolled: 1-line block ×4, first 2 shown]
	v_add_co_u32 v0, vcc_lo, s8, v14
	s_wait_alu 0xfffd
	v_add_co_ci_u32_e32 v1, vcc_lo, s9, v15, vcc_lo
	s_delay_alu instid0(VALU_DEP_2) | instskip(SKIP_1) | instid1(VALU_DEP_2)
	v_add_co_u32 v2, vcc_lo, v0, v2
	s_wait_alu 0xfffd
	v_add_co_ci_u32_e32 v3, vcc_lo, v1, v3, vcc_lo
	v_cmp_eq_u32_e32 vcc_lo, 0xa1, v12
	s_wait_dscnt 0x4
	s_clause 0x1
	global_store_b64 v[2:3], v[4:5], off
	global_store_b64 v[2:3], v[6:7], off offset:1296
	s_wait_dscnt 0x3
	s_clause 0x1
	global_store_b64 v[2:3], v[8:9], off offset:2592
	global_store_b64 v[2:3], v[10:11], off offset:3888
	s_wait_dscnt 0x2
	s_clause 0x1
	global_store_b64 v[2:3], v[16:17], off offset:5184
	global_store_b64 v[2:3], v[18:19], off offset:6480
	s_wait_dscnt 0x1
	s_clause 0x1
	global_store_b64 v[2:3], v[20:21], off offset:7776
	global_store_b64 v[2:3], v[22:23], off offset:9072
	s_wait_dscnt 0x0
	s_clause 0x1
	global_store_b64 v[2:3], v[24:25], off offset:10368
	global_store_b64 v[2:3], v[26:27], off offset:11664
	s_and_b32 exec_lo, exec_lo, vcc_lo
	s_cbranch_execz .LBB0_36
; %bb.35:
	v_mov_b32_e32 v2, 0
	ds_load_b64 v[2:3], v2 offset:12960
	s_wait_dscnt 0x0
	global_store_b64 v[0:1], v[2:3], off offset:12960
.LBB0_36:
	s_nop 0
	s_sendmsg sendmsg(MSG_DEALLOC_VGPRS)
	s_endpgm
	.section	.rodata,"a",@progbits
	.p2align	6, 0x0
	.amdhsa_kernel fft_rtc_back_len1620_factors_10_3_3_6_3_wgs_162_tpt_162_halfLds_sp_ip_CI_unitstride_sbrr_R2C_dirReg
		.amdhsa_group_segment_fixed_size 0
		.amdhsa_private_segment_fixed_size 0
		.amdhsa_kernarg_size 88
		.amdhsa_user_sgpr_count 2
		.amdhsa_user_sgpr_dispatch_ptr 0
		.amdhsa_user_sgpr_queue_ptr 0
		.amdhsa_user_sgpr_kernarg_segment_ptr 1
		.amdhsa_user_sgpr_dispatch_id 0
		.amdhsa_user_sgpr_private_segment_size 0
		.amdhsa_wavefront_size32 1
		.amdhsa_uses_dynamic_stack 0
		.amdhsa_enable_private_segment 0
		.amdhsa_system_sgpr_workgroup_id_x 1
		.amdhsa_system_sgpr_workgroup_id_y 0
		.amdhsa_system_sgpr_workgroup_id_z 0
		.amdhsa_system_sgpr_workgroup_info 0
		.amdhsa_system_vgpr_workitem_id 0
		.amdhsa_next_free_vgpr 67
		.amdhsa_next_free_sgpr 32
		.amdhsa_reserve_vcc 1
		.amdhsa_float_round_mode_32 0
		.amdhsa_float_round_mode_16_64 0
		.amdhsa_float_denorm_mode_32 3
		.amdhsa_float_denorm_mode_16_64 3
		.amdhsa_fp16_overflow 0
		.amdhsa_workgroup_processor_mode 1
		.amdhsa_memory_ordered 1
		.amdhsa_forward_progress 0
		.amdhsa_round_robin_scheduling 0
		.amdhsa_exception_fp_ieee_invalid_op 0
		.amdhsa_exception_fp_denorm_src 0
		.amdhsa_exception_fp_ieee_div_zero 0
		.amdhsa_exception_fp_ieee_overflow 0
		.amdhsa_exception_fp_ieee_underflow 0
		.amdhsa_exception_fp_ieee_inexact 0
		.amdhsa_exception_int_div_zero 0
	.end_amdhsa_kernel
	.text
.Lfunc_end0:
	.size	fft_rtc_back_len1620_factors_10_3_3_6_3_wgs_162_tpt_162_halfLds_sp_ip_CI_unitstride_sbrr_R2C_dirReg, .Lfunc_end0-fft_rtc_back_len1620_factors_10_3_3_6_3_wgs_162_tpt_162_halfLds_sp_ip_CI_unitstride_sbrr_R2C_dirReg
                                        ; -- End function
	.section	.AMDGPU.csdata,"",@progbits
; Kernel info:
; codeLenInByte = 8908
; NumSgprs: 34
; NumVgprs: 67
; ScratchSize: 0
; MemoryBound: 0
; FloatMode: 240
; IeeeMode: 1
; LDSByteSize: 0 bytes/workgroup (compile time only)
; SGPRBlocks: 4
; VGPRBlocks: 8
; NumSGPRsForWavesPerEU: 34
; NumVGPRsForWavesPerEU: 67
; Occupancy: 15
; WaveLimiterHint : 1
; COMPUTE_PGM_RSRC2:SCRATCH_EN: 0
; COMPUTE_PGM_RSRC2:USER_SGPR: 2
; COMPUTE_PGM_RSRC2:TRAP_HANDLER: 0
; COMPUTE_PGM_RSRC2:TGID_X_EN: 1
; COMPUTE_PGM_RSRC2:TGID_Y_EN: 0
; COMPUTE_PGM_RSRC2:TGID_Z_EN: 0
; COMPUTE_PGM_RSRC2:TIDIG_COMP_CNT: 0
	.text
	.p2alignl 7, 3214868480
	.fill 96, 4, 3214868480
	.type	__hip_cuid_3931d37095c4b6cf,@object ; @__hip_cuid_3931d37095c4b6cf
	.section	.bss,"aw",@nobits
	.globl	__hip_cuid_3931d37095c4b6cf
__hip_cuid_3931d37095c4b6cf:
	.byte	0                               ; 0x0
	.size	__hip_cuid_3931d37095c4b6cf, 1

	.ident	"AMD clang version 19.0.0git (https://github.com/RadeonOpenCompute/llvm-project roc-6.4.0 25133 c7fe45cf4b819c5991fe208aaa96edf142730f1d)"
	.section	".note.GNU-stack","",@progbits
	.addrsig
	.addrsig_sym __hip_cuid_3931d37095c4b6cf
	.amdgpu_metadata
---
amdhsa.kernels:
  - .args:
      - .actual_access:  read_only
        .address_space:  global
        .offset:         0
        .size:           8
        .value_kind:     global_buffer
      - .offset:         8
        .size:           8
        .value_kind:     by_value
      - .actual_access:  read_only
        .address_space:  global
        .offset:         16
        .size:           8
        .value_kind:     global_buffer
      - .actual_access:  read_only
        .address_space:  global
        .offset:         24
        .size:           8
        .value_kind:     global_buffer
      - .offset:         32
        .size:           8
        .value_kind:     by_value
      - .actual_access:  read_only
        .address_space:  global
        .offset:         40
        .size:           8
        .value_kind:     global_buffer
      - .actual_access:  read_only
        .address_space:  global
        .offset:         48
        .size:           8
        .value_kind:     global_buffer
      - .offset:         56
        .size:           4
        .value_kind:     by_value
      - .actual_access:  read_only
        .address_space:  global
        .offset:         64
        .size:           8
        .value_kind:     global_buffer
      - .actual_access:  read_only
        .address_space:  global
        .offset:         72
        .size:           8
        .value_kind:     global_buffer
      - .address_space:  global
        .offset:         80
        .size:           8
        .value_kind:     global_buffer
    .group_segment_fixed_size: 0
    .kernarg_segment_align: 8
    .kernarg_segment_size: 88
    .language:       OpenCL C
    .language_version:
      - 2
      - 0
    .max_flat_workgroup_size: 162
    .name:           fft_rtc_back_len1620_factors_10_3_3_6_3_wgs_162_tpt_162_halfLds_sp_ip_CI_unitstride_sbrr_R2C_dirReg
    .private_segment_fixed_size: 0
    .sgpr_count:     34
    .sgpr_spill_count: 0
    .symbol:         fft_rtc_back_len1620_factors_10_3_3_6_3_wgs_162_tpt_162_halfLds_sp_ip_CI_unitstride_sbrr_R2C_dirReg.kd
    .uniform_work_group_size: 1
    .uses_dynamic_stack: false
    .vgpr_count:     67
    .vgpr_spill_count: 0
    .wavefront_size: 32
    .workgroup_processor_mode: 1
amdhsa.target:   amdgcn-amd-amdhsa--gfx1201
amdhsa.version:
  - 1
  - 2
...

	.end_amdgpu_metadata
